;; amdgpu-corpus repo=ROCm/rocFFT kind=compiled arch=gfx906 opt=O3
	.text
	.amdgcn_target "amdgcn-amd-amdhsa--gfx906"
	.amdhsa_code_object_version 6
	.protected	fft_rtc_back_len390_factors_13_3_10_wgs_117_tpt_39_dp_ip_CI_unitstride_sbrr_C2R_dirReg ; -- Begin function fft_rtc_back_len390_factors_13_3_10_wgs_117_tpt_39_dp_ip_CI_unitstride_sbrr_C2R_dirReg
	.globl	fft_rtc_back_len390_factors_13_3_10_wgs_117_tpt_39_dp_ip_CI_unitstride_sbrr_C2R_dirReg
	.p2align	8
	.type	fft_rtc_back_len390_factors_13_3_10_wgs_117_tpt_39_dp_ip_CI_unitstride_sbrr_C2R_dirReg,@function
fft_rtc_back_len390_factors_13_3_10_wgs_117_tpt_39_dp_ip_CI_unitstride_sbrr_C2R_dirReg: ; @fft_rtc_back_len390_factors_13_3_10_wgs_117_tpt_39_dp_ip_CI_unitstride_sbrr_C2R_dirReg
; %bb.0:
	s_load_dwordx2 s[2:3], s[4:5], 0x50
	s_load_dwordx4 s[8:11], s[4:5], 0x0
	s_load_dwordx2 s[12:13], s[4:5], 0x18
	v_mul_u32_u24_e32 v1, 0x691, v0
	v_lshrrev_b32_e32 v1, 16, v1
	v_mad_u64_u32 v[1:2], s[0:1], s6, 3, v[1:2]
	v_mov_b32_e32 v5, 0
	s_waitcnt lgkmcnt(0)
	v_cmp_lt_u64_e64 s[0:1], s[10:11], 2
	v_mov_b32_e32 v2, v5
	v_mov_b32_e32 v3, 0
	;; [unrolled: 1-line block ×3, first 2 shown]
	s_and_b64 vcc, exec, s[0:1]
	v_mov_b32_e32 v4, 0
	v_mov_b32_e32 v9, v1
	s_cbranch_vccnz .LBB0_8
; %bb.1:
	s_load_dwordx2 s[0:1], s[4:5], 0x10
	s_add_u32 s6, s12, 8
	s_addc_u32 s7, s13, 0
	v_mov_b32_e32 v3, 0
	v_mov_b32_e32 v8, v2
	s_waitcnt lgkmcnt(0)
	s_add_u32 s16, s0, 8
	s_mov_b64 s[14:15], 1
	v_mov_b32_e32 v4, 0
	s_addc_u32 s17, s1, 0
	v_mov_b32_e32 v7, v1
.LBB0_2:                                ; =>This Inner Loop Header: Depth=1
	s_load_dwordx2 s[18:19], s[16:17], 0x0
                                        ; implicit-def: $vgpr9_vgpr10
	s_waitcnt lgkmcnt(0)
	v_or_b32_e32 v6, s19, v8
	v_cmp_ne_u64_e32 vcc, 0, v[5:6]
	s_and_saveexec_b64 s[0:1], vcc
	s_xor_b64 s[20:21], exec, s[0:1]
	s_cbranch_execz .LBB0_4
; %bb.3:                                ;   in Loop: Header=BB0_2 Depth=1
	v_cvt_f32_u32_e32 v2, s18
	v_cvt_f32_u32_e32 v6, s19
	s_sub_u32 s0, 0, s18
	s_subb_u32 s1, 0, s19
	v_mac_f32_e32 v2, 0x4f800000, v6
	v_rcp_f32_e32 v2, v2
	v_mul_f32_e32 v2, 0x5f7ffffc, v2
	v_mul_f32_e32 v6, 0x2f800000, v2
	v_trunc_f32_e32 v6, v6
	v_mac_f32_e32 v2, 0xcf800000, v6
	v_cvt_u32_f32_e32 v6, v6
	v_cvt_u32_f32_e32 v2, v2
	v_mul_lo_u32 v9, s0, v6
	v_mul_hi_u32 v10, s0, v2
	v_mul_lo_u32 v12, s1, v2
	v_mul_lo_u32 v11, s0, v2
	v_add_u32_e32 v9, v10, v9
	v_add_u32_e32 v9, v9, v12
	v_mul_hi_u32 v10, v2, v11
	v_mul_lo_u32 v12, v2, v9
	v_mul_hi_u32 v14, v2, v9
	v_mul_hi_u32 v13, v6, v11
	v_mul_lo_u32 v11, v6, v11
	v_mul_hi_u32 v15, v6, v9
	v_add_co_u32_e32 v10, vcc, v10, v12
	v_addc_co_u32_e32 v12, vcc, 0, v14, vcc
	v_mul_lo_u32 v9, v6, v9
	v_add_co_u32_e32 v10, vcc, v10, v11
	v_addc_co_u32_e32 v10, vcc, v12, v13, vcc
	v_addc_co_u32_e32 v11, vcc, 0, v15, vcc
	v_add_co_u32_e32 v9, vcc, v10, v9
	v_addc_co_u32_e32 v10, vcc, 0, v11, vcc
	v_add_co_u32_e32 v2, vcc, v2, v9
	v_addc_co_u32_e32 v6, vcc, v6, v10, vcc
	v_mul_lo_u32 v9, s0, v6
	v_mul_hi_u32 v10, s0, v2
	v_mul_lo_u32 v11, s1, v2
	v_mul_lo_u32 v12, s0, v2
	v_add_u32_e32 v9, v10, v9
	v_add_u32_e32 v9, v9, v11
	v_mul_lo_u32 v13, v2, v9
	v_mul_hi_u32 v14, v2, v12
	v_mul_hi_u32 v15, v2, v9
	;; [unrolled: 1-line block ×3, first 2 shown]
	v_mul_lo_u32 v12, v6, v12
	v_mul_hi_u32 v10, v6, v9
	v_add_co_u32_e32 v13, vcc, v14, v13
	v_addc_co_u32_e32 v14, vcc, 0, v15, vcc
	v_mul_lo_u32 v9, v6, v9
	v_add_co_u32_e32 v12, vcc, v13, v12
	v_addc_co_u32_e32 v11, vcc, v14, v11, vcc
	v_addc_co_u32_e32 v10, vcc, 0, v10, vcc
	v_add_co_u32_e32 v9, vcc, v11, v9
	v_addc_co_u32_e32 v10, vcc, 0, v10, vcc
	v_add_co_u32_e32 v2, vcc, v2, v9
	v_addc_co_u32_e32 v6, vcc, v6, v10, vcc
	v_mad_u64_u32 v[9:10], s[0:1], v7, v6, 0
	v_mul_hi_u32 v11, v7, v2
	v_add_co_u32_e32 v13, vcc, v11, v9
	v_addc_co_u32_e32 v14, vcc, 0, v10, vcc
	v_mad_u64_u32 v[9:10], s[0:1], v8, v2, 0
	v_mad_u64_u32 v[11:12], s[0:1], v8, v6, 0
	v_add_co_u32_e32 v2, vcc, v13, v9
	v_addc_co_u32_e32 v2, vcc, v14, v10, vcc
	v_addc_co_u32_e32 v6, vcc, 0, v12, vcc
	v_add_co_u32_e32 v2, vcc, v2, v11
	v_addc_co_u32_e32 v6, vcc, 0, v6, vcc
	v_mul_lo_u32 v11, s19, v2
	v_mul_lo_u32 v12, s18, v6
	v_mad_u64_u32 v[9:10], s[0:1], s18, v2, 0
	v_add3_u32 v10, v10, v12, v11
	v_sub_u32_e32 v11, v8, v10
	v_mov_b32_e32 v12, s19
	v_sub_co_u32_e32 v9, vcc, v7, v9
	v_subb_co_u32_e64 v11, s[0:1], v11, v12, vcc
	v_subrev_co_u32_e64 v12, s[0:1], s18, v9
	v_subbrev_co_u32_e64 v11, s[0:1], 0, v11, s[0:1]
	v_cmp_le_u32_e64 s[0:1], s19, v11
	v_cndmask_b32_e64 v13, 0, -1, s[0:1]
	v_cmp_le_u32_e64 s[0:1], s18, v12
	v_cndmask_b32_e64 v12, 0, -1, s[0:1]
	v_cmp_eq_u32_e64 s[0:1], s19, v11
	v_cndmask_b32_e64 v11, v13, v12, s[0:1]
	v_add_co_u32_e64 v12, s[0:1], 2, v2
	v_addc_co_u32_e64 v13, s[0:1], 0, v6, s[0:1]
	v_add_co_u32_e64 v14, s[0:1], 1, v2
	v_addc_co_u32_e64 v15, s[0:1], 0, v6, s[0:1]
	v_subb_co_u32_e32 v10, vcc, v8, v10, vcc
	v_cmp_ne_u32_e64 s[0:1], 0, v11
	v_cmp_le_u32_e32 vcc, s19, v10
	v_cndmask_b32_e64 v11, v15, v13, s[0:1]
	v_cndmask_b32_e64 v13, 0, -1, vcc
	v_cmp_le_u32_e32 vcc, s18, v9
	v_cndmask_b32_e64 v9, 0, -1, vcc
	v_cmp_eq_u32_e32 vcc, s19, v10
	v_cndmask_b32_e32 v9, v13, v9, vcc
	v_cmp_ne_u32_e32 vcc, 0, v9
	v_cndmask_b32_e32 v10, v6, v11, vcc
	v_cndmask_b32_e64 v6, v14, v12, s[0:1]
	v_cndmask_b32_e32 v9, v2, v6, vcc
.LBB0_4:                                ;   in Loop: Header=BB0_2 Depth=1
	s_andn2_saveexec_b64 s[0:1], s[20:21]
	s_cbranch_execz .LBB0_6
; %bb.5:                                ;   in Loop: Header=BB0_2 Depth=1
	v_cvt_f32_u32_e32 v2, s18
	s_sub_i32 s20, 0, s18
	v_rcp_iflag_f32_e32 v2, v2
	v_mul_f32_e32 v2, 0x4f7ffffe, v2
	v_cvt_u32_f32_e32 v2, v2
	v_mul_lo_u32 v6, s20, v2
	v_mul_hi_u32 v6, v2, v6
	v_add_u32_e32 v2, v2, v6
	v_mul_hi_u32 v2, v7, v2
	v_mul_lo_u32 v6, v2, s18
	v_add_u32_e32 v9, 1, v2
	v_sub_u32_e32 v6, v7, v6
	v_subrev_u32_e32 v10, s18, v6
	v_cmp_le_u32_e32 vcc, s18, v6
	v_cndmask_b32_e32 v6, v6, v10, vcc
	v_cndmask_b32_e32 v2, v2, v9, vcc
	v_add_u32_e32 v9, 1, v2
	v_cmp_le_u32_e32 vcc, s18, v6
	v_cndmask_b32_e32 v9, v2, v9, vcc
	v_mov_b32_e32 v10, v5
.LBB0_6:                                ;   in Loop: Header=BB0_2 Depth=1
	s_or_b64 exec, exec, s[0:1]
	v_mul_lo_u32 v2, v10, s18
	v_mul_lo_u32 v6, v9, s19
	v_mad_u64_u32 v[11:12], s[0:1], v9, s18, 0
	s_load_dwordx2 s[0:1], s[6:7], 0x0
	s_add_u32 s14, s14, 1
	v_add3_u32 v2, v12, v6, v2
	v_sub_co_u32_e32 v6, vcc, v7, v11
	v_subb_co_u32_e32 v2, vcc, v8, v2, vcc
	s_waitcnt lgkmcnt(0)
	v_mul_lo_u32 v2, s0, v2
	v_mul_lo_u32 v7, s1, v6
	v_mad_u64_u32 v[3:4], s[0:1], s0, v6, v[3:4]
	s_addc_u32 s15, s15, 0
	s_add_u32 s6, s6, 8
	v_add3_u32 v4, v7, v4, v2
	v_mov_b32_e32 v6, s10
	v_mov_b32_e32 v7, s11
	s_addc_u32 s7, s7, 0
	v_cmp_ge_u64_e32 vcc, s[14:15], v[6:7]
	s_add_u32 s16, s16, 8
	s_addc_u32 s17, s17, 0
	s_cbranch_vccnz .LBB0_8
; %bb.7:                                ;   in Loop: Header=BB0_2 Depth=1
	v_mov_b32_e32 v7, v9
	v_mov_b32_e32 v8, v10
	s_branch .LBB0_2
.LBB0_8:
	s_lshl_b64 s[0:1], s[10:11], 3
	s_add_u32 s0, s12, s0
	s_addc_u32 s1, s13, s1
	s_load_dwordx2 s[0:1], s[0:1], 0x0
	s_mov_b32 s6, 0xaaaaaaab
	v_mul_hi_u32 v5, v1, s6
	s_waitcnt lgkmcnt(0)
	v_mul_lo_u32 v6, s0, v10
	v_mul_lo_u32 v7, s1, v9
	v_mad_u64_u32 v[2:3], s[0:1], s0, v9, v[3:4]
	s_load_dwordx2 s[0:1], s[4:5], 0x20
	s_mov_b32 s4, 0x6906907
	v_lshrrev_b32_e32 v4, 1, v5
	v_mul_hi_u32 v5, v0, s4
	v_lshl_add_u32 v4, v4, 1, v4
	v_add3_u32 v3, v7, v3, v6
	v_sub_u32_e32 v1, v1, v4
	v_mul_u32_u24_e32 v1, 0x187, v1
	s_waitcnt lgkmcnt(0)
	v_cmp_gt_u64_e64 s[0:1], s[0:1], v[9:10]
	v_mul_u32_u24_e32 v4, 39, v5
	v_lshlrev_b64 v[70:71], 4, v[2:3]
	v_sub_u32_e32 v68, v0, v4
	v_lshlrev_b32_e32 v194, 4, v1
	s_and_saveexec_b64 s[4:5], s[0:1]
	s_cbranch_execz .LBB0_12
; %bb.9:
	v_mov_b32_e32 v69, 0
	v_mov_b32_e32 v0, s3
	v_add_co_u32_e32 v2, vcc, s2, v70
	v_lshlrev_b64 v[3:4], 4, v[68:69]
	v_addc_co_u32_e32 v0, vcc, v0, v71, vcc
	v_add_co_u32_e32 v44, vcc, v2, v3
	v_addc_co_u32_e32 v45, vcc, v0, v4, vcc
	v_add_co_u32_e32 v46, vcc, 0x1000, v44
	global_load_dwordx4 v[4:7], v[44:45], off
	global_load_dwordx4 v[8:11], v[44:45], off offset:624
	global_load_dwordx4 v[12:15], v[44:45], off offset:1248
	;; [unrolled: 1-line block ×5, first 2 shown]
	v_addc_co_u32_e32 v47, vcc, 0, v45, vcc
	global_load_dwordx4 v[28:31], v[44:45], off offset:3744
	global_load_dwordx4 v[32:35], v[46:47], off offset:272
	;; [unrolled: 1-line block ×4, first 2 shown]
	v_lshlrev_b32_e32 v3, 4, v68
	v_add3_u32 v3, 0, v194, v3
	v_cmp_eq_u32_e32 vcc, 38, v68
	s_waitcnt vmcnt(9)
	ds_write_b128 v3, v[4:7]
	s_waitcnt vmcnt(8)
	ds_write_b128 v3, v[8:11] offset:624
	s_waitcnt vmcnt(7)
	ds_write_b128 v3, v[12:15] offset:1248
	;; [unrolled: 2-line block ×9, first 2 shown]
	s_and_saveexec_b64 s[6:7], vcc
	s_cbranch_execz .LBB0_11
; %bb.10:
	v_add_co_u32_e32 v4, vcc, 0x1000, v2
	v_addc_co_u32_e32 v5, vcc, 0, v0, vcc
	global_load_dwordx4 v[4:7], v[4:5], off offset:2144
	v_mov_b32_e32 v68, 38
	s_waitcnt vmcnt(0)
	ds_write_b128 v3, v[4:7] offset:5632
.LBB0_11:
	s_or_b64 exec, exec, s[6:7]
.LBB0_12:
	s_or_b64 exec, exec, s[4:5]
	v_lshl_add_u32 v192, v1, 4, 0
	v_lshlrev_b32_e32 v11, 4, v68
	v_add_u32_e32 v193, v192, v11
	s_waitcnt lgkmcnt(0)
	s_barrier
	v_sub_u32_e32 v10, v192, v11
	ds_read_b64 v[6:7], v193
	ds_read_b64 v[8:9], v10 offset:6240
	s_add_u32 s6, s8, 0x1790
	s_addc_u32 s7, s9, 0
	v_cmp_ne_u32_e32 vcc, 0, v68
                                        ; implicit-def: $vgpr4_vgpr5
	s_waitcnt lgkmcnt(0)
	v_add_f64 v[0:1], v[6:7], v[8:9]
	v_add_f64 v[2:3], v[6:7], -v[8:9]
	s_and_saveexec_b64 s[4:5], vcc
	s_xor_b64 s[4:5], exec, s[4:5]
	s_cbranch_execz .LBB0_14
; %bb.13:
	v_mov_b32_e32 v69, 0
	v_lshlrev_b64 v[0:1], 4, v[68:69]
	v_mov_b32_e32 v2, s7
	v_add_co_u32_e32 v0, vcc, s6, v0
	v_addc_co_u32_e32 v1, vcc, v2, v1, vcc
	global_load_dwordx4 v[2:5], v[0:1], off
	ds_read_b64 v[0:1], v10 offset:6248
	ds_read_b64 v[12:13], v193 offset:8
	v_add_f64 v[14:15], v[6:7], v[8:9]
	v_add_f64 v[8:9], v[6:7], -v[8:9]
	s_waitcnt lgkmcnt(0)
	v_add_f64 v[16:17], v[0:1], v[12:13]
	v_add_f64 v[0:1], v[12:13], -v[0:1]
	s_waitcnt vmcnt(0)
	v_fma_f64 v[6:7], -v[8:9], v[4:5], v[14:15]
	v_fma_f64 v[12:13], v[16:17], v[4:5], -v[0:1]
	v_fma_f64 v[14:15], v[8:9], v[4:5], v[14:15]
	v_fma_f64 v[18:19], v[16:17], v[4:5], v[0:1]
	;; [unrolled: 1-line block ×4, first 2 shown]
	v_fma_f64 v[0:1], -v[16:17], v[2:3], v[14:15]
	v_fma_f64 v[2:3], v[8:9], v[2:3], v[18:19]
	ds_write_b128 v10, v[4:7] offset:6240
	v_mov_b32_e32 v4, v68
	v_mov_b32_e32 v5, v69
.LBB0_14:
	s_andn2_saveexec_b64 s[4:5], s[4:5]
	s_cbranch_execz .LBB0_16
; %bb.15:
	ds_read_b128 v[4:7], v192 offset:3120
	s_waitcnt lgkmcnt(0)
	v_add_f64 v[12:13], v[4:5], v[4:5]
	v_mul_f64 v[14:15], v[6:7], -2.0
	v_mov_b32_e32 v4, 0
	v_mov_b32_e32 v5, 0
	ds_write_b128 v192, v[12:15] offset:3120
.LBB0_16:
	s_or_b64 exec, exec, s[4:5]
	v_lshlrev_b64 v[4:5], 4, v[4:5]
	v_mov_b32_e32 v6, s7
	v_add_co_u32_e32 v24, vcc, s6, v4
	v_addc_co_u32_e32 v25, vcc, v6, v5, vcc
	global_load_dwordx4 v[4:7], v[24:25], off offset:624
	global_load_dwordx4 v[12:15], v[24:25], off offset:1248
	ds_write_b128 v193, v[0:3]
	ds_read_b128 v[0:3], v193 offset:624
	ds_read_b128 v[16:19], v10 offset:5616
	global_load_dwordx4 v[20:23], v[24:25], off offset:1872
	v_add3_u32 v69, 0, v11, v194
	s_mov_b32 s4, 0x42a4c3d2
	s_mov_b32 s6, 0x1ea71119
	s_waitcnt lgkmcnt(0)
	v_add_f64 v[8:9], v[0:1], v[16:17]
	v_add_f64 v[26:27], v[18:19], v[2:3]
	v_add_f64 v[16:17], v[0:1], -v[16:17]
	v_add_f64 v[0:1], v[2:3], -v[18:19]
	s_mov_b32 s10, 0xb2365da1
	s_mov_b32 s14, 0x2ef20147
	;; [unrolled: 1-line block ×32, first 2 shown]
	v_cmp_gt_u32_e32 vcc, 30, v68
	s_waitcnt vmcnt(2)
	v_fma_f64 v[2:3], v[16:17], v[6:7], v[8:9]
	v_fma_f64 v[18:19], v[26:27], v[6:7], v[0:1]
	v_fma_f64 v[8:9], -v[16:17], v[6:7], v[8:9]
	v_fma_f64 v[28:29], v[26:27], v[6:7], -v[0:1]
	v_fma_f64 v[0:1], -v[26:27], v[4:5], v[2:3]
	v_fma_f64 v[2:3], v[16:17], v[4:5], v[18:19]
	v_fma_f64 v[6:7], v[26:27], v[4:5], v[8:9]
	;; [unrolled: 1-line block ×3, first 2 shown]
	ds_write_b128 v193, v[0:3] offset:624
	ds_write_b128 v10, v[6:9] offset:5616
	ds_read_b128 v[4:7], v193 offset:1248
	ds_read_b128 v[16:19], v10 offset:4992
	global_load_dwordx4 v[0:3], v[24:25], off offset:2496
	s_waitcnt lgkmcnt(0)
	v_add_f64 v[8:9], v[4:5], v[16:17]
	v_add_f64 v[24:25], v[18:19], v[6:7]
	v_add_f64 v[16:17], v[4:5], -v[16:17]
	v_add_f64 v[4:5], v[6:7], -v[18:19]
	s_waitcnt vmcnt(2)
	v_fma_f64 v[6:7], v[16:17], v[14:15], v[8:9]
	v_fma_f64 v[18:19], v[24:25], v[14:15], v[4:5]
	v_fma_f64 v[8:9], -v[16:17], v[14:15], v[8:9]
	v_fma_f64 v[26:27], v[24:25], v[14:15], -v[4:5]
	v_fma_f64 v[4:5], -v[24:25], v[12:13], v[6:7]
	v_fma_f64 v[6:7], v[16:17], v[12:13], v[18:19]
	v_fma_f64 v[14:15], v[24:25], v[12:13], v[8:9]
	;; [unrolled: 1-line block ×3, first 2 shown]
	ds_write_b128 v193, v[4:7] offset:1248
	ds_write_b128 v10, v[14:17] offset:4992
	ds_read_b128 v[4:7], v193 offset:1872
	ds_read_b128 v[12:15], v10 offset:4368
	s_waitcnt lgkmcnt(0)
	v_add_f64 v[8:9], v[4:5], v[12:13]
	v_add_f64 v[16:17], v[14:15], v[6:7]
	v_add_f64 v[18:19], v[4:5], -v[12:13]
	v_add_f64 v[4:5], v[6:7], -v[14:15]
	s_waitcnt vmcnt(1)
	v_fma_f64 v[6:7], v[18:19], v[22:23], v[8:9]
	v_fma_f64 v[11:12], v[16:17], v[22:23], v[4:5]
	v_fma_f64 v[8:9], -v[18:19], v[22:23], v[8:9]
	v_fma_f64 v[13:14], v[16:17], v[22:23], -v[4:5]
	v_fma_f64 v[4:5], -v[16:17], v[20:21], v[6:7]
	v_fma_f64 v[6:7], v[18:19], v[20:21], v[11:12]
	v_fma_f64 v[11:12], v[16:17], v[20:21], v[8:9]
	;; [unrolled: 1-line block ×3, first 2 shown]
	ds_write_b128 v193, v[4:7] offset:1872
	ds_write_b128 v10, v[11:14] offset:4368
	ds_read_b128 v[4:7], v193 offset:2496
	ds_read_b128 v[11:14], v10 offset:3744
	s_waitcnt lgkmcnt(0)
	v_add_f64 v[8:9], v[4:5], v[11:12]
	v_add_f64 v[15:16], v[13:14], v[6:7]
	v_add_f64 v[11:12], v[4:5], -v[11:12]
	v_add_f64 v[4:5], v[6:7], -v[13:14]
	s_waitcnt vmcnt(0)
	v_fma_f64 v[6:7], v[11:12], v[2:3], v[8:9]
	v_fma_f64 v[13:14], v[15:16], v[2:3], v[4:5]
	v_fma_f64 v[8:9], -v[11:12], v[2:3], v[8:9]
	v_fma_f64 v[17:18], v[15:16], v[2:3], -v[4:5]
	v_fma_f64 v[2:3], -v[15:16], v[0:1], v[6:7]
	v_fma_f64 v[4:5], v[11:12], v[0:1], v[13:14]
	v_fma_f64 v[6:7], v[15:16], v[0:1], v[8:9]
	v_fma_f64 v[8:9], v[11:12], v[0:1], v[17:18]
	ds_write_b128 v193, v[2:5] offset:2496
	ds_write_b128 v10, v[6:9] offset:3744
	s_waitcnt lgkmcnt(0)
	s_barrier
	s_barrier
	ds_read_b128 v[12:15], v69 offset:5760
	ds_read_b128 v[60:63], v69 offset:480
	ds_read_b128 v[28:31], v193
	ds_read_b128 v[56:59], v69 offset:960
	ds_read_b128 v[52:55], v69 offset:1440
	ds_read_b128 v[16:19], v69 offset:5280
	ds_read_b128 v[20:23], v69 offset:4800
	ds_read_b128 v[48:51], v69 offset:1920
	ds_read_b128 v[44:47], v69 offset:2400
	ds_read_b128 v[24:27], v69 offset:4320
	ds_read_b128 v[32:35], v69 offset:3840
	ds_read_b128 v[40:43], v69 offset:2880
	ds_read_b128 v[36:39], v69 offset:3360
	s_waitcnt lgkmcnt(11)
	v_add_f64 v[100:101], v[62:63], -v[14:15]
	v_add_f64 v[94:95], v[62:63], v[14:15]
	v_add_f64 v[88:89], v[60:61], v[12:13]
	s_waitcnt lgkmcnt(7)
	v_add_f64 v[96:97], v[58:59], -v[18:19]
	v_add_f64 v[126:127], v[60:61], -v[12:13]
	v_add_f64 v[92:93], v[58:59], v[18:19]
	v_add_f64 v[84:85], v[56:57], v[16:17]
	v_add_f64 v[124:125], v[56:57], -v[16:17]
	v_mul_f64 v[136:137], v[100:101], s[4:5]
	v_mul_f64 v[142:143], v[94:95], s[6:7]
	;; [unrolled: 1-line block ×6, first 2 shown]
	s_waitcnt lgkmcnt(6)
	v_add_f64 v[98:99], v[54:55], -v[22:23]
	v_add_f64 v[90:91], v[54:55], v[22:23]
	v_mul_f64 v[128:129], v[96:97], s[14:15]
	v_mul_f64 v[140:141], v[92:93], s[10:11]
	;; [unrolled: 1-line block ×6, first 2 shown]
	v_fma_f64 v[0:1], v[88:89], s[6:7], -v[136:137]
	v_fma_f64 v[2:3], v[126:127], s[4:5], v[142:143]
	v_fma_f64 v[203:204], v[88:89], s[20:21], -v[166:167]
	v_fma_f64 v[207:208], v[126:127], s[22:23], v[176:177]
	;; [unrolled: 2-line block ×3, first 2 shown]
	v_add_f64 v[82:83], v[52:53], v[20:21]
	v_add_f64 v[114:115], v[52:53], -v[20:21]
	s_waitcnt lgkmcnt(3)
	v_add_f64 v[102:103], v[50:51], -v[26:27]
	v_add_f64 v[86:87], v[50:51], v[26:27]
	v_mul_f64 v[122:123], v[98:99], s[16:17]
	v_mul_f64 v[132:133], v[90:91], s[12:13]
	v_mul_f64 v[152:153], v[98:99], s[42:43]
	v_mul_f64 v[172:173], v[90:91], s[10:11]
	v_mul_f64 v[178:179], v[98:99], s[26:27]
	v_mul_f64 v[184:185], v[90:91], s[24:25]
	v_fma_f64 v[4:5], v[84:85], s[10:11], -v[128:129]
	v_fma_f64 v[6:7], v[124:125], s[14:15], v[140:141]
	v_fma_f64 v[205:206], v[84:85], s[12:13], -v[160:161]
	v_fma_f64 v[209:210], v[124:125], s[16:17], v[174:175]
	v_fma_f64 v[231:232], v[84:85], s[18:19], -v[180:181]
	v_fma_f64 v[233:234], v[124:125], s[30:31], v[186:187]
	v_add_f64 v[0:1], v[28:29], v[0:1]
	v_add_f64 v[2:3], v[30:31], v[2:3]
	v_add_f64 v[203:204], v[28:29], v[203:204]
	v_add_f64 v[207:208], v[30:31], v[207:208]
	v_add_f64 v[227:228], v[28:29], v[227:228]
	v_add_f64 v[229:230], v[30:31], v[229:230]
	v_add_f64 v[78:79], v[48:49], v[24:25]
	v_add_f64 v[112:113], v[48:49], -v[24:25]
	s_waitcnt lgkmcnt(2)
	v_add_f64 v[104:105], v[46:47], -v[34:35]
	v_add_f64 v[80:81], v[46:47], v[34:35]
	v_mul_f64 v[120:121], v[102:103], s[30:31]
	v_mul_f64 v[130:131], v[86:87], s[18:19]
	v_mul_f64 v[148:149], v[102:103], s[26:27]
	v_mul_f64 v[156:157], v[86:87], s[24:25]
	v_mul_f64 v[170:171], v[102:103], s[22:23]
	v_mul_f64 v[190:191], v[86:87], s[20:21]
	v_fma_f64 v[8:9], v[82:83], s[12:13], -v[122:123]
	v_fma_f64 v[10:11], v[114:115], s[16:17], v[132:133]
	v_fma_f64 v[211:212], v[82:83], s[10:11], -v[152:153]
	v_fma_f64 v[213:214], v[114:115], s[42:43], v[172:173]
	v_fma_f64 v[235:236], v[82:83], s[24:25], -v[178:179]
	v_fma_f64 v[237:238], v[114:115], s[26:27], v[184:185]
	v_add_f64 v[0:1], v[4:5], v[0:1]
	v_add_f64 v[2:3], v[6:7], v[2:3]
	v_add_f64 v[4:5], v[205:206], v[203:204]
	v_add_f64 v[6:7], v[209:210], v[207:208]
	v_add_f64 v[203:204], v[231:232], v[227:228]
	v_add_f64 v[205:206], v[233:234], v[229:230]
	;; [unrolled: 23-line block ×3, first 2 shown]
	v_add_f64 v[72:73], v[40:41], v[36:37]
	v_add_f64 v[108:109], v[40:41], -v[36:37]
	v_mul_f64 v[116:117], v[106:107], s[26:27]
	v_mul_f64 v[138:139], v[74:75], s[24:25]
	;; [unrolled: 1-line block ×6, first 2 shown]
	v_fma_f64 v[195:196], v[76:77], s[20:21], -v[118:119]
	v_fma_f64 v[197:198], v[110:111], s[36:37], v[134:135]
	v_fma_f64 v[219:220], v[76:77], s[6:7], -v[146:147]
	v_fma_f64 v[221:222], v[110:111], s[4:5], v[154:155]
	;; [unrolled: 2-line block ×3, first 2 shown]
	v_add_f64 v[0:1], v[64:65], v[0:1]
	v_add_f64 v[2:3], v[66:67], v[2:3]
	;; [unrolled: 1-line block ×6, first 2 shown]
	v_fma_f64 v[199:200], v[72:73], s[24:25], -v[116:117]
	v_fma_f64 v[201:202], v[108:109], s[26:27], v[138:139]
	v_fma_f64 v[223:224], v[72:73], s[18:19], -v[144:145]
	v_fma_f64 v[225:226], v[108:109], s[28:29], v[150:151]
	;; [unrolled: 2-line block ×3, first 2 shown]
	v_add_f64 v[0:1], v[195:196], v[0:1]
	v_add_f64 v[2:3], v[197:198], v[2:3]
	;; [unrolled: 1-line block ×6, first 2 shown]
	s_barrier
	v_add_f64 v[8:9], v[199:200], v[0:1]
	v_add_f64 v[10:11], v[201:202], v[2:3]
	;; [unrolled: 1-line block ×6, first 2 shown]
	s_and_saveexec_b64 s[34:35], vcc
	s_cbranch_execz .LBB0_18
; %bb.17:
	v_mul_f64 v[64:65], v[126:127], s[16:17]
	v_mul_f64 v[66:67], v[124:125], s[26:27]
	;; [unrolled: 1-line block ×8, first 2 shown]
	v_fma_f64 v[199:200], v[94:95], s[12:13], v[64:65]
	v_fma_f64 v[229:230], v[92:93], s[24:25], v[66:67]
	v_fma_f64 v[231:232], v[88:89], s[12:13], -v[197:198]
	v_fma_f64 v[239:240], v[90:91], s[18:19], v[225:226]
	v_fma_f64 v[241:242], v[84:85], s[24:25], -v[227:228]
	v_fma_f64 v[64:65], v[94:95], s[12:13], -v[64:65]
	v_mul_f64 v[243:244], v[102:103], s[38:39]
	v_fma_f64 v[245:246], v[82:83], s[18:19], -v[237:238]
	v_add_f64 v[199:200], v[30:31], v[199:200]
	v_fma_f64 v[66:67], v[92:93], s[24:25], -v[66:67]
	v_add_f64 v[231:232], v[28:29], v[231:232]
	v_fma_f64 v[197:198], v[88:89], s[12:13], v[197:198]
	v_mul_f64 v[195:196], v[108:109], s[36:37]
	v_add_f64 v[64:65], v[30:31], v[64:65]
	v_fma_f64 v[235:236], v[80:81], s[10:11], v[201:202]
	v_fma_f64 v[225:226], v[90:91], s[18:19], -v[225:226]
	v_add_f64 v[199:200], v[229:230], v[199:200]
	v_fma_f64 v[229:230], v[86:87], s[6:7], v[233:234]
	v_add_f64 v[231:232], v[241:242], v[231:232]
	v_fma_f64 v[241:242], v[78:79], s[6:7], -v[243:244]
	v_fma_f64 v[227:228], v[84:85], s[24:25], v[227:228]
	v_add_f64 v[197:198], v[28:29], v[197:198]
	v_add_f64 v[64:65], v[66:67], v[64:65]
	v_fma_f64 v[223:224], v[74:75], s[20:21], v[195:196]
	v_add_f64 v[199:200], v[239:240], v[199:200]
	v_mul_f64 v[239:240], v[104:105], s[14:15]
	v_add_f64 v[66:67], v[245:246], v[231:232]
	v_fma_f64 v[233:234], v[86:87], s[6:7], -v[233:234]
	v_fma_f64 v[237:238], v[82:83], s[18:19], v[237:238]
	v_add_f64 v[197:198], v[227:228], v[197:198]
	v_add_f64 v[64:65], v[225:226], v[64:65]
	v_fma_f64 v[201:202], v[80:81], s[10:11], -v[201:202]
	v_add_f64 v[199:200], v[229:230], v[199:200]
	v_mul_f64 v[229:230], v[106:107], s[36:37]
	v_fma_f64 v[231:232], v[76:77], s[10:11], -v[239:240]
	v_add_f64 v[66:67], v[241:242], v[66:67]
	v_fma_f64 v[195:196], v[74:75], s[20:21], -v[195:196]
	v_add_f64 v[197:198], v[237:238], v[197:198]
	v_add_f64 v[64:65], v[233:234], v[64:65]
	v_mul_f64 v[233:234], v[100:101], s[28:29]
	v_add_f64 v[199:200], v[235:236], v[199:200]
	v_fma_f64 v[227:228], v[72:73], s[20:21], -v[229:230]
	v_fma_f64 v[235:236], v[78:79], s[6:7], v[243:244]
	v_add_f64 v[231:232], v[231:232], v[66:67]
	v_fma_f64 v[229:230], v[72:73], s[20:21], v[229:230]
	v_mul_f64 v[241:242], v[98:99], s[4:5]
	v_add_f64 v[201:202], v[201:202], v[64:65]
	v_fma_f64 v[237:238], v[88:89], s[18:19], -v[233:234]
	v_add_f64 v[66:67], v[223:224], v[199:200]
	v_mul_f64 v[199:200], v[126:127], s[28:29]
	v_fma_f64 v[223:224], v[76:77], s[10:11], v[239:240]
	v_add_f64 v[197:198], v[235:236], v[197:198]
	v_add_f64 v[64:65], v[227:228], v[231:232]
	v_mul_f64 v[227:228], v[124:125], s[36:37]
	v_mul_f64 v[235:236], v[96:97], s[36:37]
	v_add_f64 v[237:238], v[28:29], v[237:238]
	v_fma_f64 v[233:234], v[88:89], s[18:19], v[233:234]
	v_fma_f64 v[231:232], v[94:95], s[18:19], v[199:200]
	v_fma_f64 v[199:200], v[94:95], s[18:19], -v[199:200]
	v_add_f64 v[223:224], v[223:224], v[197:198]
	v_add_f64 v[197:198], v[195:196], v[201:202]
	v_mul_f64 v[201:202], v[114:115], s[4:5]
	v_fma_f64 v[239:240], v[92:93], s[20:21], v[227:228]
	v_fma_f64 v[243:244], v[84:85], s[20:21], -v[235:236]
	v_fma_f64 v[227:228], v[92:93], s[20:21], -v[227:228]
	v_add_f64 v[231:232], v[30:31], v[231:232]
	v_add_f64 v[199:200], v[30:31], v[199:200]
	;; [unrolled: 1-line block ×3, first 2 shown]
	v_mul_f64 v[223:224], v[112:113], s[40:41]
	v_fma_f64 v[229:230], v[90:91], s[6:7], v[201:202]
	v_fma_f64 v[245:246], v[82:83], s[6:7], -v[241:242]
	v_add_f64 v[237:238], v[243:244], v[237:238]
	v_mul_f64 v[247:248], v[110:111], s[26:27]
	v_add_f64 v[231:232], v[239:240], v[231:232]
	v_mul_f64 v[239:240], v[102:103], s[40:41]
	v_add_f64 v[199:200], v[227:228], v[199:200]
	v_fma_f64 v[227:228], v[84:85], s[20:21], v[235:236]
	v_add_f64 v[233:234], v[28:29], v[233:234]
	v_mul_f64 v[235:236], v[104:105], s[26:27]
	v_add_f64 v[237:238], v[245:246], v[237:238]
	v_fma_f64 v[201:202], v[90:91], s[6:7], -v[201:202]
	v_add_f64 v[229:230], v[229:230], v[231:232]
	v_fma_f64 v[231:232], v[86:87], s[12:13], v[223:224]
	v_fma_f64 v[245:246], v[78:79], s[12:13], -v[239:240]
	v_fma_f64 v[241:242], v[82:83], s[6:7], v[241:242]
	v_add_f64 v[227:228], v[227:228], v[233:234]
	v_mul_f64 v[209:210], v[126:127], s[22:23]
	v_mul_f64 v[211:212], v[88:89], s[10:11]
	v_fma_f64 v[233:234], v[76:77], s[24:25], -v[235:236]
	v_add_f64 v[199:200], v[201:202], v[199:200]
	v_add_f64 v[229:230], v[231:232], v[229:230]
	v_fma_f64 v[231:232], v[80:81], s[24:25], v[247:248]
	v_add_f64 v[237:238], v[245:246], v[237:238]
	v_mul_f64 v[245:246], v[108:109], s[14:15]
	v_mul_f64 v[249:250], v[106:107], s[14:15]
	v_fma_f64 v[201:202], v[86:87], s[12:13], -v[223:224]
	v_add_f64 v[227:228], v[241:242], v[227:228]
	v_mul_f64 v[213:214], v[126:127], s[14:15]
	v_mul_f64 v[221:222], v[124:125], s[16:17]
	v_add_f64 v[223:224], v[231:232], v[229:230]
	v_fma_f64 v[231:232], v[78:79], s[12:13], v[239:240]
	v_mul_f64 v[225:226], v[84:85], s[18:19]
	v_fma_f64 v[239:240], v[74:75], s[10:11], v[245:246]
	v_add_f64 v[233:234], v[233:234], v[237:238]
	v_fma_f64 v[237:238], v[72:73], s[10:11], -v[249:250]
	v_fma_f64 v[235:236], v[76:77], s[24:25], v[235:236]
	v_add_f64 v[182:183], v[211:212], v[182:183]
	v_add_f64 v[176:177], v[176:177], -v[209:210]
	v_add_f64 v[227:228], v[231:232], v[227:228]
	v_mul_f64 v[207:208], v[88:89], s[20:21]
	v_mul_f64 v[243:244], v[124:125], s[30:31]
	v_add_f64 v[241:242], v[201:202], v[199:200]
	v_add_f64 v[201:202], v[239:240], v[223:224]
	;; [unrolled: 1-line block ×3, first 2 shown]
	v_mul_f64 v[233:234], v[114:115], s[42:43]
	v_mul_f64 v[239:240], v[82:83], s[24:25]
	v_add_f64 v[227:228], v[235:236], v[227:228]
	v_mul_f64 v[235:236], v[114:115], s[26:27]
	v_add_f64 v[188:189], v[188:189], -v[213:214]
	v_add_f64 v[180:181], v[225:226], v[180:181]
	v_add_f64 v[182:183], v[28:29], v[182:183]
	v_add_f64 v[174:175], v[174:175], -v[221:222]
	v_add_f64 v[176:177], v[30:31], v[176:177]
	v_add_f64 v[62:63], v[30:31], v[62:63]
	;; [unrolled: 1-line block ×3, first 2 shown]
	v_mul_f64 v[219:220], v[84:85], s[12:13]
	v_add_f64 v[186:187], v[186:187], -v[243:244]
	v_mul_f64 v[211:212], v[112:113], s[26:27]
	v_add_f64 v[188:189], v[30:31], v[188:189]
	v_add_f64 v[184:185], v[184:185], -v[235:236]
	v_mul_f64 v[235:236], v[78:79], s[20:21]
	v_add_f64 v[178:179], v[239:240], v[178:179]
	v_add_f64 v[180:181], v[180:181], v[182:183]
	v_add_f64 v[172:173], v[172:173], -v[233:234]
	v_add_f64 v[166:167], v[207:208], v[166:167]
	v_add_f64 v[174:175], v[174:175], v[176:177]
	v_add_f64 v[58:59], v[62:63], v[58:59]
	v_add_f64 v[56:57], v[60:61], v[56:57]
	v_mul_f64 v[231:232], v[82:83], s[10:11]
	v_add_f64 v[186:187], v[186:187], v[188:189]
	v_mul_f64 v[239:240], v[110:111], s[4:5]
	v_mul_f64 v[221:222], v[76:77], s[12:13]
	v_add_f64 v[160:161], v[219:220], v[160:161]
	v_add_f64 v[170:171], v[235:236], v[170:171]
	;; [unrolled: 1-line block ×4, first 2 shown]
	v_add_f64 v[156:157], v[156:157], -v[211:212]
	v_add_f64 v[172:173], v[172:173], v[174:175]
	v_add_f64 v[54:55], v[58:59], v[54:55]
	;; [unrolled: 1-line block ×3, first 2 shown]
	v_mul_f64 v[205:206], v[126:127], s[4:5]
	v_add_f64 v[184:185], v[184:185], v[186:187]
	v_mul_f64 v[186:187], v[108:109], s[28:29]
	v_add_f64 v[152:153], v[231:232], v[152:153]
	v_add_f64 v[160:161], v[160:161], v[166:167]
	;; [unrolled: 1-line block ×4, first 2 shown]
	v_add_f64 v[154:155], v[154:155], -v[239:240]
	v_add_f64 v[156:157], v[156:157], v[172:173]
	v_add_f64 v[50:51], v[54:55], v[50:51]
	;; [unrolled: 1-line block ×3, first 2 shown]
	v_mul_f64 v[203:204], v[88:89], s[6:7]
	v_mul_f64 v[217:218], v[124:125], s[14:15]
	v_add_f64 v[152:153], v[152:153], v[160:161]
	v_add_f64 v[160:161], v[162:163], v[166:167]
	v_add_f64 v[162:163], v[150:151], -v[186:187]
	v_add_f64 v[154:155], v[154:155], v[156:157]
	v_add_f64 v[166:167], v[142:143], -v[205:206]
	v_mul_f64 v[207:208], v[108:109], s[26:27]
	s_mov_b32 s27, 0xbfddbe06
	v_add_f64 v[46:47], v[50:51], v[46:47]
	v_add_f64 v[44:45], v[52:53], v[44:45]
	v_mul_f64 v[215:216], v[84:85], s[10:11]
	v_mul_f64 v[251:252], v[114:115], s[16:17]
	;; [unrolled: 1-line block ×3, first 2 shown]
	v_add_f64 v[142:143], v[162:163], v[154:155]
	v_add_f64 v[140:141], v[140:141], -v[217:218]
	v_add_f64 v[154:155], v[30:31], v[166:167]
	v_add_f64 v[136:137], v[203:204], v[136:137]
	v_mul_f64 v[126:127], v[126:127], s[26:27]
	v_mul_f64 v[50:51], v[100:101], s[26:27]
	v_add_f64 v[42:43], v[46:47], v[42:43]
	v_add_f64 v[40:41], v[44:45], v[40:41]
	v_mul_f64 v[229:230], v[82:83], s[12:13]
	v_add_f64 v[190:191], v[190:191], -v[223:224]
	v_mul_f64 v[223:224], v[112:113], s[30:31]
	v_add_f64 v[132:133], v[132:133], -v[251:252]
	v_add_f64 v[140:141], v[140:141], v[154:155]
	v_add_f64 v[128:129], v[215:216], v[128:129]
	;; [unrolled: 1-line block ×3, first 2 shown]
	v_mul_f64 v[124:125], v[124:125], s[4:5]
	v_fma_f64 v[154:155], v[94:95], s[24:25], v[126:127]
	v_fma_f64 v[94:95], v[94:95], s[24:25], -v[126:127]
	v_mul_f64 v[96:97], v[96:97], s[4:5]
	v_fma_f64 v[44:45], v[88:89], s[24:25], v[50:51]
	v_fma_f64 v[50:51], v[88:89], s[24:25], -v[50:51]
	v_add_f64 v[38:39], v[42:43], v[38:39]
	v_add_f64 v[36:37], v[40:41], v[36:37]
	v_mul_f64 v[213:214], v[78:79], s[18:19]
	v_mul_f64 v[209:210], v[110:111], s[36:37]
	v_add_f64 v[130:131], v[130:131], -v[223:224]
	v_add_f64 v[132:133], v[132:133], v[140:141]
	v_add_f64 v[122:123], v[229:230], v[122:123]
	;; [unrolled: 1-line block ×3, first 2 shown]
	v_mul_f64 v[114:115], v[114:115], s[22:23]
	v_fma_f64 v[136:137], v[92:93], s[6:7], v[124:125]
	v_add_f64 v[140:141], v[30:31], v[154:155]
	v_mul_f64 v[46:47], v[98:99], s[22:23]
	v_fma_f64 v[88:89], v[92:93], s[6:7], -v[124:125]
	v_add_f64 v[30:31], v[30:31], v[94:95]
	v_fma_f64 v[92:93], v[84:85], s[6:7], v[96:97]
	v_add_f64 v[40:41], v[28:29], v[44:45]
	v_fma_f64 v[247:248], v[80:81], s[24:25], -v[247:248]
	v_fma_f64 v[42:43], v[84:85], s[6:7], -v[96:97]
	v_add_f64 v[28:29], v[28:29], v[50:51]
	v_add_f64 v[34:35], v[38:39], v[34:35]
	;; [unrolled: 1-line block ×3, first 2 shown]
	v_mul_f64 v[225:226], v[76:77], s[20:21]
	v_add_f64 v[134:135], v[134:135], -v[209:210]
	v_add_f64 v[60:61], v[130:131], v[132:133]
	v_add_f64 v[62:63], v[213:214], v[120:121]
	v_add_f64 v[120:121], v[122:123], v[128:129]
	v_mul_f64 v[112:113], v[112:113], s[14:15]
	v_mul_f64 v[102:103], v[102:103], s[14:15]
	v_fma_f64 v[44:45], v[90:91], s[20:21], -v[114:115]
	v_add_f64 v[30:31], v[88:89], v[30:31]
	v_fma_f64 v[50:51], v[82:83], s[20:21], v[46:47]
	v_add_f64 v[36:37], v[92:93], v[40:41]
	v_add_f64 v[237:238], v[247:248], v[241:242]
	v_mul_f64 v[241:242], v[78:79], s[24:25]
	v_fma_f64 v[122:123], v[90:91], s[20:21], v[114:115]
	v_add_f64 v[128:129], v[136:137], v[140:141]
	v_fma_f64 v[38:39], v[82:83], s[20:21], -v[46:47]
	v_add_f64 v[28:29], v[42:43], v[28:29]
	v_add_f64 v[26:27], v[34:35], v[26:27]
	;; [unrolled: 1-line block ×3, first 2 shown]
	v_add_f64 v[138:139], v[138:139], -v[207:208]
	v_add_f64 v[56:57], v[134:135], v[60:61]
	v_add_f64 v[58:59], v[225:226], v[118:119]
	;; [unrolled: 1-line block ×3, first 2 shown]
	v_mul_f64 v[62:63], v[110:111], s[28:29]
	v_mul_f64 v[100:101], v[104:105], s[28:29]
	v_fma_f64 v[40:41], v[86:87], s[10:11], -v[112:113]
	v_add_f64 v[30:31], v[44:45], v[30:31]
	v_fma_f64 v[42:43], v[78:79], s[10:11], v[102:103]
	v_add_f64 v[32:33], v[50:51], v[36:37]
	v_mul_f64 v[188:189], v[76:77], s[6:7]
	v_add_f64 v[170:171], v[241:242], v[148:149]
	v_mul_f64 v[182:183], v[110:111], s[40:41]
	v_fma_f64 v[110:111], v[86:87], s[10:11], v[112:113]
	v_add_f64 v[118:119], v[122:123], v[128:129]
	v_fma_f64 v[34:35], v[78:79], s[10:11], -v[102:103]
	v_add_f64 v[28:29], v[38:39], v[28:29]
	v_add_f64 v[22:23], v[26:27], v[22:23]
	;; [unrolled: 1-line block ×5, first 2 shown]
	v_mul_f64 v[58:59], v[108:109], s[16:17]
	v_mul_f64 v[52:53], v[106:107], s[16:17]
	v_fma_f64 v[36:37], v[80:81], s[18:19], -v[62:63]
	v_add_f64 v[30:31], v[40:41], v[30:31]
	v_fma_f64 v[38:39], v[76:77], s[18:19], v[100:101]
	v_add_f64 v[24:25], v[42:43], v[32:33]
	v_mul_f64 v[233:234], v[72:73], s[24:25]
	v_mul_f64 v[176:177], v[72:73], s[18:19]
	v_add_f64 v[156:157], v[188:189], v[146:147]
	v_add_f64 v[170:171], v[170:171], v[152:153]
	v_mul_f64 v[219:220], v[72:73], s[6:7]
	v_mul_f64 v[235:236], v[108:109], s[38:39]
	v_add_f64 v[168:169], v[168:169], -v[182:183]
	v_add_f64 v[174:175], v[190:191], v[184:185]
	v_fma_f64 v[60:61], v[80:81], s[18:19], v[62:63]
	v_add_f64 v[108:109], v[110:111], v[118:119]
	v_fma_f64 v[26:27], v[76:77], s[18:19], -v[100:101]
	v_add_f64 v[28:29], v[34:35], v[28:29]
	v_add_f64 v[18:19], v[22:23], v[18:19]
	v_add_f64 v[22:23], v[20:21], v[16:17]
	v_fma_f64 v[32:33], v[74:75], s[12:13], -v[58:59]
	v_add_f64 v[30:31], v[36:37], v[30:31]
	v_fma_f64 v[34:35], v[72:73], s[12:13], v[52:53]
	v_add_f64 v[24:25], v[38:39], v[24:25]
	v_add_f64 v[54:55], v[233:234], v[116:117]
	;; [unrolled: 1-line block ×4, first 2 shown]
	v_add_f64 v[164:165], v[164:165], -v[235:236]
	v_add_f64 v[168:169], v[168:169], v[174:175]
	v_add_f64 v[158:159], v[219:220], v[158:159]
	v_fma_f64 v[243:244], v[74:75], s[10:11], -v[245:246]
	v_fma_f64 v[245:246], v[72:73], s[10:11], v[249:250]
	v_fma_f64 v[36:37], v[74:75], s[12:13], v[58:59]
	v_add_f64 v[38:39], v[60:61], v[108:109]
	v_fma_f64 v[40:41], v[72:73], s[12:13], -v[52:53]
	v_add_f64 v[26:27], v[26:27], v[28:29]
	v_add_f64 v[20:21], v[18:19], v[14:15]
	;; [unrolled: 1-line block ×11, first 2 shown]
	v_mul_u32_u24_e32 v12, 0xd0, v68
	v_add3_u32 v12, 0, v12, v194
	v_add_f64 v[24:25], v[36:37], v[38:39]
	v_add_f64 v[22:23], v[40:41], v[26:27]
	ds_write_b128 v12, v[18:21]
	ds_write_b128 v12, v[14:17] offset:16
	ds_write_b128 v12, v[46:49] offset:32
	;; [unrolled: 1-line block ×12, first 2 shown]
.LBB0_18:
	s_or_b64 exec, exec, s[34:35]
	s_waitcnt lgkmcnt(0)
	s_barrier
	ds_read_b128 v[16:19], v193
	ds_read_b128 v[12:15], v69 offset:624
	ds_read_b128 v[32:35], v69 offset:4160
	;; [unrolled: 1-line block ×8, first 2 shown]
	v_cmp_gt_u32_e32 vcc, 13, v68
	s_and_saveexec_b64 s[4:5], vcc
	s_cbranch_execz .LBB0_20
; %bb.19:
	ds_read_b128 v[0:3], v69 offset:1872
	ds_read_b128 v[4:7], v69 offset:3952
	;; [unrolled: 1-line block ×3, first 2 shown]
.LBB0_20:
	s_or_b64 exec, exec, s[4:5]
	s_movk_i32 s12, 0x4f
	v_mul_lo_u16_sdwa v48, v68, s12 dst_sel:DWORD dst_unused:UNUSED_PAD src0_sel:BYTE_0 src1_sel:DWORD
	v_lshrrev_b16_e32 v66, 10, v48
	v_mul_lo_u16_e32 v48, 13, v66
	v_sub_u16_e32 v67, v68, v48
	v_mov_b32_e32 v48, 5
	v_lshlrev_b32_sdwa v49, v48, v67 dst_sel:DWORD dst_unused:UNUSED_PAD src0_sel:DWORD src1_sel:BYTE_0
	global_load_dwordx4 v[50:53], v49, s[8:9] offset:16
	global_load_dwordx4 v[54:57], v49, s[8:9]
	v_add_u16_e32 v49, 39, v68
	v_mul_lo_u16_sdwa v58, v49, s12 dst_sel:DWORD dst_unused:UNUSED_PAD src0_sel:BYTE_0 src1_sel:DWORD
	v_lshrrev_b16_e32 v80, 10, v58
	v_mul_lo_u16_e32 v58, 13, v80
	v_sub_u16_e32 v81, v49, v58
	v_lshlrev_b32_sdwa v49, v48, v81 dst_sel:DWORD dst_unused:UNUSED_PAD src0_sel:DWORD src1_sel:BYTE_0
	global_load_dwordx4 v[58:61], v49, s[8:9] offset:16
	global_load_dwordx4 v[62:65], v49, s[8:9]
	v_add_u16_e32 v49, 0x4e, v68
	v_mul_lo_u16_sdwa v72, v49, s12 dst_sel:DWORD dst_unused:UNUSED_PAD src0_sel:BYTE_0 src1_sel:DWORD
	v_lshrrev_b16_e32 v82, 10, v72
	v_mul_lo_u16_e32 v72, 13, v82
	v_sub_u16_e32 v83, v49, v72
	v_lshlrev_b32_sdwa v49, v48, v83 dst_sel:DWORD dst_unused:UNUSED_PAD src0_sel:DWORD src1_sel:BYTE_0
	global_load_dwordx4 v[72:75], v49, s[8:9]
	global_load_dwordx4 v[76:79], v49, s[8:9] offset:16
	s_movk_i32 s10, 0x270
	v_mov_b32_e32 v49, 4
	v_mad_u32_u24 v66, v66, s10, 0
	v_mad_u32_u24 v80, v80, s10, 0
	v_lshlrev_b32_sdwa v67, v49, v67 dst_sel:DWORD dst_unused:UNUSED_PAD src0_sel:DWORD src1_sel:BYTE_0
	v_lshlrev_b32_sdwa v81, v49, v81 dst_sel:DWORD dst_unused:UNUSED_PAD src0_sel:DWORD src1_sel:BYTE_0
	v_add3_u32 v90, v66, v67, v194
	v_add3_u32 v91, v80, v81, v194
	v_mad_u32_u24 v82, v82, s10, 0
	v_lshlrev_b32_sdwa v83, v49, v83 dst_sel:DWORD dst_unused:UNUSED_PAD src0_sel:DWORD src1_sel:BYTE_0
	v_add3_u32 v92, v82, v83, v194
	s_mov_b32 s4, 0xe8584caa
	s_mov_b32 s5, 0xbfebb67a
	;; [unrolled: 1-line block ×4, first 2 shown]
	s_waitcnt vmcnt(0) lgkmcnt(0)
	s_barrier
	v_mul_f64 v[80:81], v[34:35], v[52:53]
	v_mul_f64 v[66:67], v[46:47], v[56:57]
	;; [unrolled: 1-line block ×8, first 2 shown]
	v_fma_f64 v[44:45], v[44:45], v[54:55], v[66:67]
	v_fma_f64 v[46:47], v[46:47], v[54:55], -v[56:57]
	v_fma_f64 v[32:33], v[32:33], v[50:51], v[80:81]
	v_mul_f64 v[86:87], v[38:39], v[74:75]
	v_mul_f64 v[74:75], v[36:37], v[74:75]
	;; [unrolled: 1-line block ×4, first 2 shown]
	v_fma_f64 v[34:35], v[34:35], v[50:51], -v[52:53]
	v_fma_f64 v[40:41], v[40:41], v[62:63], v[82:83]
	v_fma_f64 v[42:43], v[42:43], v[62:63], -v[64:65]
	v_fma_f64 v[50:51], v[24:25], v[58:59], v[84:85]
	;; [unrolled: 2-line block ×4, first 2 shown]
	v_fma_f64 v[30:31], v[30:31], v[76:77], -v[78:79]
	v_add_f64 v[36:37], v[16:17], v[44:45]
	v_add_f64 v[38:39], v[44:45], v[32:33]
	v_add_f64 v[54:55], v[46:47], -v[34:35]
	v_add_f64 v[56:57], v[18:19], v[46:47]
	v_add_f64 v[46:47], v[46:47], v[34:35]
	;; [unrolled: 1-line block ×3, first 2 shown]
	v_add_f64 v[62:63], v[42:43], -v[52:53]
	v_add_f64 v[64:65], v[14:15], v[42:43]
	v_add_f64 v[42:43], v[42:43], v[52:53]
	v_add_f64 v[72:73], v[24:25], v[28:29]
	v_add_f64 v[78:79], v[26:27], v[30:31]
	v_add_f64 v[44:45], v[44:45], -v[32:33]
	v_add_f64 v[66:67], v[20:21], v[24:25]
	v_add_f64 v[74:75], v[26:27], -v[30:31]
	v_add_f64 v[76:77], v[22:23], v[26:27]
	;; [unrolled: 2-line block ×3, first 2 shown]
	v_fma_f64 v[32:33], v[38:39], -0.5, v[16:17]
	v_add_f64 v[26:27], v[56:57], v[34:35]
	v_fma_f64 v[34:35], v[46:47], -0.5, v[18:19]
	v_add_f64 v[58:59], v[12:13], v[40:41]
	v_add_f64 v[40:41], v[40:41], -v[50:51]
	v_fma_f64 v[36:37], v[60:61], -0.5, v[12:13]
	v_fma_f64 v[38:39], v[42:43], -0.5, v[14:15]
	;; [unrolled: 1-line block ×4, first 2 shown]
	v_fma_f64 v[20:21], v[54:55], s[4:5], v[32:33]
	v_fma_f64 v[22:23], v[44:45], s[6:7], v[34:35]
	v_add_f64 v[12:13], v[66:67], v[28:29]
	v_add_f64 v[14:15], v[76:77], v[30:31]
	v_fma_f64 v[28:29], v[54:55], s[6:7], v[32:33]
	v_fma_f64 v[30:31], v[44:45], s[4:5], v[34:35]
	v_add_f64 v[16:17], v[58:59], v[50:51]
	v_add_f64 v[18:19], v[64:65], v[52:53]
	v_fma_f64 v[32:33], v[62:63], s[4:5], v[36:37]
	v_fma_f64 v[34:35], v[40:41], s[6:7], v[38:39]
	;; [unrolled: 1-line block ×8, first 2 shown]
	ds_write_b128 v90, v[24:27]
	ds_write_b128 v90, v[20:23] offset:208
	ds_write_b128 v90, v[28:31] offset:416
	ds_write_b128 v91, v[16:19]
	ds_write_b128 v91, v[32:35] offset:208
	ds_write_b128 v91, v[36:39] offset:416
	;; [unrolled: 3-line block ×3, first 2 shown]
	s_and_saveexec_b64 s[10:11], vcc
	s_cbranch_execz .LBB0_22
; %bb.21:
	v_add_u16_e32 v12, 0x75, v68
	v_mul_lo_u16_sdwa v13, v12, s12 dst_sel:DWORD dst_unused:UNUSED_PAD src0_sel:BYTE_0 src1_sel:DWORD
	v_lshrrev_b16_e32 v13, 10, v13
	v_mul_lo_u16_e32 v13, 13, v13
	v_sub_u16_e32 v24, v12, v13
	v_lshlrev_b32_sdwa v20, v48, v24 dst_sel:DWORD dst_unused:UNUSED_PAD src0_sel:DWORD src1_sel:BYTE_0
	global_load_dwordx4 v[12:15], v20, s[8:9]
	global_load_dwordx4 v[16:19], v20, s[8:9] offset:16
	s_waitcnt vmcnt(1)
	v_mul_f64 v[20:21], v[4:5], v[14:15]
	s_waitcnt vmcnt(0)
	v_mul_f64 v[22:23], v[8:9], v[18:19]
	v_mul_f64 v[14:15], v[6:7], v[14:15]
	;; [unrolled: 1-line block ×3, first 2 shown]
	v_fma_f64 v[6:7], v[6:7], v[12:13], -v[20:21]
	v_fma_f64 v[10:11], v[10:11], v[16:17], -v[22:23]
	v_fma_f64 v[4:5], v[4:5], v[12:13], v[14:15]
	v_fma_f64 v[8:9], v[8:9], v[16:17], v[18:19]
	v_add_f64 v[18:19], v[2:3], v[6:7]
	v_add_f64 v[12:13], v[6:7], v[10:11]
	v_add_f64 v[20:21], v[6:7], -v[10:11]
	v_add_f64 v[14:15], v[4:5], v[8:9]
	v_add_f64 v[16:17], v[4:5], -v[8:9]
	v_add_f64 v[4:5], v[0:1], v[4:5]
	v_fma_f64 v[12:13], v[12:13], -0.5, v[2:3]
	v_add_f64 v[2:3], v[18:19], v[10:11]
	v_fma_f64 v[14:15], v[14:15], -0.5, v[0:1]
	v_add_f64 v[0:1], v[4:5], v[8:9]
	v_fma_f64 v[10:11], v[16:17], s[6:7], v[12:13]
	v_fma_f64 v[6:7], v[16:17], s[4:5], v[12:13]
	;; [unrolled: 1-line block ×4, first 2 shown]
	v_lshlrev_b32_sdwa v12, v49, v24 dst_sel:DWORD dst_unused:UNUSED_PAD src0_sel:DWORD src1_sel:BYTE_0
	v_add3_u32 v12, 0, v12, v194
	ds_write_b128 v12, v[0:3] offset:5616
	ds_write_b128 v12, v[8:11] offset:5824
	;; [unrolled: 1-line block ×3, first 2 shown]
.LBB0_22:
	s_or_b64 exec, exec, s[10:11]
	v_mul_u32_u24_e32 v0, 9, v68
	v_lshlrev_b32_e32 v36, 4, v0
	s_waitcnt lgkmcnt(0)
	s_barrier
	global_load_dwordx4 v[0:3], v36, s[8:9] offset:416
	global_load_dwordx4 v[4:7], v36, s[8:9] offset:432
	;; [unrolled: 1-line block ×9, first 2 shown]
	ds_read_b128 v[36:39], v193
	ds_read_b128 v[40:43], v69 offset:624
	ds_read_b128 v[44:47], v69 offset:1248
	;; [unrolled: 1-line block ×9, first 2 shown]
	s_mov_b32 s12, 0x134454ff
	s_mov_b32 s13, 0xbfee6f0e
	;; [unrolled: 1-line block ×12, first 2 shown]
	s_waitcnt vmcnt(0) lgkmcnt(0)
	s_barrier
	v_mul_f64 v[80:81], v[42:43], v[2:3]
	v_mul_f64 v[2:3], v[40:41], v[2:3]
	;; [unrolled: 1-line block ×18, first 2 shown]
	v_fma_f64 v[40:41], v[40:41], v[0:1], v[80:81]
	v_fma_f64 v[0:1], v[42:43], v[0:1], -v[2:3]
	v_fma_f64 v[2:3], v[44:45], v[4:5], v[82:83]
	v_fma_f64 v[4:5], v[46:47], v[4:5], -v[6:7]
	;; [unrolled: 2-line block ×6, first 2 shown]
	v_fma_f64 v[22:23], v[74:75], v[28:29], -v[30:31]
	v_fma_f64 v[30:31], v[64:65], v[24:25], v[92:93]
	v_fma_f64 v[24:25], v[66:67], v[24:25], -v[26:27]
	v_fma_f64 v[26:27], v[72:73], v[28:29], v[94:95]
	v_fma_f64 v[28:29], v[76:77], v[32:33], v[96:97]
	v_fma_f64 v[32:33], v[78:79], v[32:33], -v[34:35]
	v_add_f64 v[34:35], v[36:37], v[2:3]
	v_add_f64 v[42:43], v[10:11], v[18:19]
	v_add_f64 v[48:49], v[2:3], -v[10:11]
	v_add_f64 v[58:59], v[38:39], v[4:5]
	v_add_f64 v[60:61], v[12:13], v[20:21]
	v_add_f64 v[50:51], v[26:27], -v[18:19]
	;; [unrolled: 3-line block ×3, first 2 shown]
	v_add_f64 v[46:47], v[12:13], -v[20:21]
	v_add_f64 v[54:55], v[10:11], -v[2:3]
	;; [unrolled: 1-line block ×7, first 2 shown]
	v_add_f64 v[78:79], v[14:15], v[30:31]
	v_add_f64 v[10:11], v[34:35], v[10:11]
	v_fma_f64 v[34:35], v[42:43], -0.5, v[36:37]
	v_add_f64 v[42:43], v[48:49], v[50:51]
	v_fma_f64 v[36:37], v[52:53], -0.5, v[36:37]
	;; [unrolled: 2-line block ×3, first 2 shown]
	v_fma_f64 v[38:39], v[72:73], -0.5, v[38:39]
	v_add_f64 v[66:67], v[22:23], -v[20:21]
	v_add_f64 v[74:75], v[20:21], -v[22:23]
	v_add_f64 v[76:77], v[40:41], v[6:7]
	v_add_f64 v[80:81], v[8:9], -v[32:33]
	v_add_f64 v[48:49], v[54:55], v[56:57]
	v_fma_f64 v[56:57], v[78:79], -0.5, v[40:41]
	v_add_f64 v[10:11], v[10:11], v[18:19]
	v_fma_f64 v[18:19], v[44:45], s[12:13], v[34:35]
	v_fma_f64 v[34:35], v[44:45], s[6:7], v[34:35]
	;; [unrolled: 1-line block ×4, first 2 shown]
	v_add_f64 v[12:13], v[12:13], v[20:21]
	v_fma_f64 v[20:21], v[2:3], s[6:7], v[50:51]
	v_fma_f64 v[50:51], v[2:3], s[12:13], v[50:51]
	;; [unrolled: 1-line block ×4, first 2 shown]
	v_add_f64 v[82:83], v[16:17], -v[24:25]
	v_add_f64 v[84:85], v[6:7], -v[14:15]
	;; [unrolled: 1-line block ×3, first 2 shown]
	v_add_f64 v[52:53], v[64:65], v[66:67]
	v_add_f64 v[54:55], v[76:77], v[14:15]
	v_fma_f64 v[64:65], v[80:81], s[12:13], v[56:57]
	v_fma_f64 v[18:19], v[46:47], s[10:11], v[18:19]
	;; [unrolled: 1-line block ×7, first 2 shown]
	v_add_f64 v[26:27], v[10:11], v[26:27]
	v_add_f64 v[22:23], v[12:13], v[22:23]
	v_fma_f64 v[10:11], v[2:3], s[8:9], v[60:61]
	v_add_f64 v[12:13], v[16:17], v[24:25]
	v_add_f64 v[4:5], v[4:5], v[74:75]
	v_fma_f64 v[2:3], v[2:3], s[10:11], v[38:39]
	v_add_f64 v[88:89], v[6:7], v[28:29]
	v_fma_f64 v[50:51], v[42:43], s[4:5], v[18:19]
	v_fma_f64 v[34:35], v[42:43], s[4:5], v[34:35]
	;; [unrolled: 1-line block ×6, first 2 shown]
	v_add_f64 v[18:19], v[54:55], v[30:31]
	v_fma_f64 v[20:21], v[82:83], s[10:11], v[64:65]
	v_add_f64 v[38:39], v[84:85], v[86:87]
	v_fma_f64 v[48:49], v[80:81], s[6:7], v[56:57]
	v_fma_f64 v[12:13], v[12:13], -0.5, v[0:1]
	v_add_f64 v[52:53], v[6:7], -v[28:29]
	v_fma_f64 v[56:57], v[4:5], s[4:5], v[2:3]
	v_add_f64 v[2:3], v[8:9], v[32:33]
	v_fma_f64 v[40:41], v[88:89], -0.5, v[40:41]
	v_fma_f64 v[54:55], v[4:5], s[4:5], v[10:11]
	v_add_f64 v[58:59], v[18:19], v[28:29]
	v_fma_f64 v[10:11], v[38:39], s[4:5], v[20:21]
	v_fma_f64 v[18:19], v[82:83], s[8:9], v[48:49]
	;; [unrolled: 1-line block ×3, first 2 shown]
	v_add_f64 v[48:49], v[14:15], -v[30:31]
	v_add_f64 v[60:61], v[8:9], -v[16:17]
	;; [unrolled: 1-line block ×3, first 2 shown]
	v_fma_f64 v[2:3], v[2:3], -0.5, v[0:1]
	v_fma_f64 v[4:5], v[82:83], s[6:7], v[40:41]
	v_add_f64 v[6:7], v[14:15], -v[6:7]
	v_add_f64 v[14:15], v[30:31], -v[28:29]
	v_add_f64 v[0:1], v[0:1], v[8:9]
	v_fma_f64 v[28:29], v[82:83], s[12:13], v[40:41]
	v_fma_f64 v[20:21], v[48:49], s[8:9], v[20:21]
	v_add_f64 v[30:31], v[60:61], v[62:63]
	v_fma_f64 v[40:41], v[48:49], s[12:13], v[2:3]
	v_add_f64 v[8:9], v[16:17], -v[8:9]
	v_add_f64 v[60:61], v[24:25], -v[32:33]
	v_fma_f64 v[2:3], v[48:49], s[6:7], v[2:3]
	v_fma_f64 v[12:13], v[52:53], s[12:13], v[12:13]
	;; [unrolled: 1-line block ×3, first 2 shown]
	v_add_f64 v[0:1], v[0:1], v[16:17]
	v_add_f64 v[6:7], v[6:7], v[14:15]
	v_fma_f64 v[14:15], v[80:81], s[8:9], v[28:29]
	v_fma_f64 v[16:17], v[30:31], s[4:5], v[20:21]
	;; [unrolled: 1-line block ×3, first 2 shown]
	v_add_f64 v[8:9], v[8:9], v[60:61]
	v_fma_f64 v[2:3], v[52:53], s[10:11], v[2:3]
	v_fma_f64 v[12:13], v[48:49], s[10:11], v[12:13]
	v_add_f64 v[0:1], v[0:1], v[24:25]
	v_fma_f64 v[24:25], v[6:7], s[4:5], v[4:5]
	v_fma_f64 v[6:7], v[6:7], s[4:5], v[14:15]
	v_mul_f64 v[4:5], v[16:17], s[10:11]
	v_mul_f64 v[16:17], v[16:17], s[14:15]
	v_fma_f64 v[14:15], v[8:9], s[4:5], v[20:21]
	v_fma_f64 v[2:3], v[8:9], s[4:5], v[2:3]
	;; [unrolled: 1-line block ×4, first 2 shown]
	v_add_f64 v[38:39], v[0:1], v[32:33]
	v_add_f64 v[0:1], v[26:27], v[58:59]
	v_fma_f64 v[28:29], v[10:11], s[14:15], v[4:5]
	v_fma_f64 v[48:49], v[10:11], s[8:9], v[16:17]
	v_mul_f64 v[4:5], v[14:15], s[12:13]
	v_mul_f64 v[12:13], v[2:3], s[12:13]
	s_mov_b32 s13, 0xbfd3c6ef
	s_mov_b32 s12, s4
	v_mul_f64 v[14:15], v[14:15], s[4:5]
	v_mul_f64 v[20:21], v[8:9], s[10:11]
	s_mov_b32 s11, 0xbfe9e377
	s_mov_b32 s10, s14
	v_mul_f64 v[2:3], v[2:3], s[12:13]
	v_mul_f64 v[8:9], v[8:9], s[10:11]
	v_fma_f64 v[30:31], v[24:25], s[4:5], v[4:5]
	v_fma_f64 v[32:33], v[6:7], s[12:13], v[12:13]
	;; [unrolled: 1-line block ×4, first 2 shown]
	v_add_f64 v[4:5], v[50:51], v[28:29]
	v_add_f64 v[20:21], v[26:27], -v[58:59]
	v_fma_f64 v[60:61], v[6:7], s[6:7], v[2:3]
	v_fma_f64 v[62:63], v[18:19], s[8:9], v[8:9]
	v_add_f64 v[2:3], v[22:23], v[38:39]
	v_add_f64 v[6:7], v[46:47], v[48:49]
	;; [unrolled: 1-line block ×8, first 2 shown]
	v_add_f64 v[22:23], v[22:23], -v[38:39]
	v_add_f64 v[24:25], v[50:51], -v[28:29]
	;; [unrolled: 1-line block ×9, first 2 shown]
	ds_write_b128 v69, v[0:3]
	ds_write_b128 v69, v[4:7] offset:624
	ds_write_b128 v69, v[8:11] offset:1248
	;; [unrolled: 1-line block ×9, first 2 shown]
	s_waitcnt lgkmcnt(0)
	s_barrier
	s_and_saveexec_b64 s[4:5], s[0:1]
	s_cbranch_execz .LBB0_24
; %bb.23:
	v_lshl_add_u32 v10, v68, 4, v192
	v_mov_b32_e32 v69, 0
	ds_read_b128 v[0:3], v10
	v_mov_b32_e32 v4, s3
	v_add_co_u32_e32 v11, vcc, s2, v70
	v_addc_co_u32_e32 v12, vcc, v4, v71, vcc
	v_lshlrev_b64 v[4:5], 4, v[68:69]
	v_add_co_u32_e32 v8, vcc, v11, v4
	v_addc_co_u32_e32 v9, vcc, v12, v5, vcc
	ds_read_b128 v[4:7], v10 offset:624
	s_waitcnt lgkmcnt(1)
	global_store_dwordx4 v[8:9], v[0:3], off
	s_nop 0
	v_add_u32_e32 v0, 39, v68
	v_mov_b32_e32 v1, v69
	v_lshlrev_b64 v[0:1], 4, v[0:1]
	v_add_co_u32_e32 v0, vcc, v11, v0
	v_addc_co_u32_e32 v1, vcc, v12, v1, vcc
	s_waitcnt lgkmcnt(0)
	global_store_dwordx4 v[0:1], v[4:7], off
	ds_read_b128 v[0:3], v10 offset:1248
	v_add_u32_e32 v4, 0x4e, v68
	v_mov_b32_e32 v5, v69
	v_lshlrev_b64 v[4:5], 4, v[4:5]
	v_add_co_u32_e32 v8, vcc, v11, v4
	v_addc_co_u32_e32 v9, vcc, v12, v5, vcc
	ds_read_b128 v[4:7], v10 offset:1872
	s_waitcnt lgkmcnt(1)
	global_store_dwordx4 v[8:9], v[0:3], off
	s_nop 0
	v_add_u32_e32 v0, 0x75, v68
	v_mov_b32_e32 v1, v69
	v_lshlrev_b64 v[0:1], 4, v[0:1]
	v_add_co_u32_e32 v0, vcc, v11, v0
	v_addc_co_u32_e32 v1, vcc, v12, v1, vcc
	s_waitcnt lgkmcnt(0)
	global_store_dwordx4 v[0:1], v[4:7], off
	ds_read_b128 v[0:3], v10 offset:2496
	v_add_u32_e32 v4, 0x9c, v68
	v_mov_b32_e32 v5, v69
	;; [unrolled: 17-line block ×4, first 2 shown]
	v_lshlrev_b64 v[4:5], 4, v[4:5]
	v_add_u32_e32 v68, 0x15f, v68
	v_add_co_u32_e32 v8, vcc, v11, v4
	v_addc_co_u32_e32 v9, vcc, v12, v5, vcc
	ds_read_b128 v[4:7], v10 offset:5616
	s_waitcnt lgkmcnt(1)
	global_store_dwordx4 v[8:9], v[0:3], off
	s_nop 0
	v_lshlrev_b64 v[0:1], 4, v[68:69]
	v_add_co_u32_e32 v0, vcc, v11, v0
	v_addc_co_u32_e32 v1, vcc, v12, v1, vcc
	s_waitcnt lgkmcnt(0)
	global_store_dwordx4 v[0:1], v[4:7], off
.LBB0_24:
	s_endpgm
	.section	.rodata,"a",@progbits
	.p2align	6, 0x0
	.amdhsa_kernel fft_rtc_back_len390_factors_13_3_10_wgs_117_tpt_39_dp_ip_CI_unitstride_sbrr_C2R_dirReg
		.amdhsa_group_segment_fixed_size 0
		.amdhsa_private_segment_fixed_size 0
		.amdhsa_kernarg_size 88
		.amdhsa_user_sgpr_count 6
		.amdhsa_user_sgpr_private_segment_buffer 1
		.amdhsa_user_sgpr_dispatch_ptr 0
		.amdhsa_user_sgpr_queue_ptr 0
		.amdhsa_user_sgpr_kernarg_segment_ptr 1
		.amdhsa_user_sgpr_dispatch_id 0
		.amdhsa_user_sgpr_flat_scratch_init 0
		.amdhsa_user_sgpr_private_segment_size 0
		.amdhsa_uses_dynamic_stack 0
		.amdhsa_system_sgpr_private_segment_wavefront_offset 0
		.amdhsa_system_sgpr_workgroup_id_x 1
		.amdhsa_system_sgpr_workgroup_id_y 0
		.amdhsa_system_sgpr_workgroup_id_z 0
		.amdhsa_system_sgpr_workgroup_info 0
		.amdhsa_system_vgpr_workitem_id 0
		.amdhsa_next_free_vgpr 253
		.amdhsa_next_free_sgpr 44
		.amdhsa_reserve_vcc 1
		.amdhsa_reserve_flat_scratch 0
		.amdhsa_float_round_mode_32 0
		.amdhsa_float_round_mode_16_64 0
		.amdhsa_float_denorm_mode_32 3
		.amdhsa_float_denorm_mode_16_64 3
		.amdhsa_dx10_clamp 1
		.amdhsa_ieee_mode 1
		.amdhsa_fp16_overflow 0
		.amdhsa_exception_fp_ieee_invalid_op 0
		.amdhsa_exception_fp_denorm_src 0
		.amdhsa_exception_fp_ieee_div_zero 0
		.amdhsa_exception_fp_ieee_overflow 0
		.amdhsa_exception_fp_ieee_underflow 0
		.amdhsa_exception_fp_ieee_inexact 0
		.amdhsa_exception_int_div_zero 0
	.end_amdhsa_kernel
	.text
.Lfunc_end0:
	.size	fft_rtc_back_len390_factors_13_3_10_wgs_117_tpt_39_dp_ip_CI_unitstride_sbrr_C2R_dirReg, .Lfunc_end0-fft_rtc_back_len390_factors_13_3_10_wgs_117_tpt_39_dp_ip_CI_unitstride_sbrr_C2R_dirReg
                                        ; -- End function
	.section	.AMDGPU.csdata,"",@progbits
; Kernel info:
; codeLenInByte = 10156
; NumSgprs: 48
; NumVgprs: 253
; ScratchSize: 0
; MemoryBound: 0
; FloatMode: 240
; IeeeMode: 1
; LDSByteSize: 0 bytes/workgroup (compile time only)
; SGPRBlocks: 5
; VGPRBlocks: 63
; NumSGPRsForWavesPerEU: 48
; NumVGPRsForWavesPerEU: 253
; Occupancy: 1
; WaveLimiterHint : 1
; COMPUTE_PGM_RSRC2:SCRATCH_EN: 0
; COMPUTE_PGM_RSRC2:USER_SGPR: 6
; COMPUTE_PGM_RSRC2:TRAP_HANDLER: 0
; COMPUTE_PGM_RSRC2:TGID_X_EN: 1
; COMPUTE_PGM_RSRC2:TGID_Y_EN: 0
; COMPUTE_PGM_RSRC2:TGID_Z_EN: 0
; COMPUTE_PGM_RSRC2:TIDIG_COMP_CNT: 0
	.type	__hip_cuid_c481c4842d51025,@object ; @__hip_cuid_c481c4842d51025
	.section	.bss,"aw",@nobits
	.globl	__hip_cuid_c481c4842d51025
__hip_cuid_c481c4842d51025:
	.byte	0                               ; 0x0
	.size	__hip_cuid_c481c4842d51025, 1

	.ident	"AMD clang version 19.0.0git (https://github.com/RadeonOpenCompute/llvm-project roc-6.4.0 25133 c7fe45cf4b819c5991fe208aaa96edf142730f1d)"
	.section	".note.GNU-stack","",@progbits
	.addrsig
	.addrsig_sym __hip_cuid_c481c4842d51025
	.amdgpu_metadata
---
amdhsa.kernels:
  - .args:
      - .actual_access:  read_only
        .address_space:  global
        .offset:         0
        .size:           8
        .value_kind:     global_buffer
      - .offset:         8
        .size:           8
        .value_kind:     by_value
      - .actual_access:  read_only
        .address_space:  global
        .offset:         16
        .size:           8
        .value_kind:     global_buffer
      - .actual_access:  read_only
        .address_space:  global
        .offset:         24
        .size:           8
        .value_kind:     global_buffer
      - .offset:         32
        .size:           8
        .value_kind:     by_value
      - .actual_access:  read_only
        .address_space:  global
        .offset:         40
        .size:           8
        .value_kind:     global_buffer
      - .actual_access:  read_only
        .address_space:  global
        .offset:         48
        .size:           8
        .value_kind:     global_buffer
      - .offset:         56
        .size:           4
        .value_kind:     by_value
      - .actual_access:  read_only
        .address_space:  global
        .offset:         64
        .size:           8
        .value_kind:     global_buffer
      - .actual_access:  read_only
        .address_space:  global
        .offset:         72
        .size:           8
        .value_kind:     global_buffer
      - .address_space:  global
        .offset:         80
        .size:           8
        .value_kind:     global_buffer
    .group_segment_fixed_size: 0
    .kernarg_segment_align: 8
    .kernarg_segment_size: 88
    .language:       OpenCL C
    .language_version:
      - 2
      - 0
    .max_flat_workgroup_size: 117
    .name:           fft_rtc_back_len390_factors_13_3_10_wgs_117_tpt_39_dp_ip_CI_unitstride_sbrr_C2R_dirReg
    .private_segment_fixed_size: 0
    .sgpr_count:     48
    .sgpr_spill_count: 0
    .symbol:         fft_rtc_back_len390_factors_13_3_10_wgs_117_tpt_39_dp_ip_CI_unitstride_sbrr_C2R_dirReg.kd
    .uniform_work_group_size: 1
    .uses_dynamic_stack: false
    .vgpr_count:     253
    .vgpr_spill_count: 0
    .wavefront_size: 64
amdhsa.target:   amdgcn-amd-amdhsa--gfx906
amdhsa.version:
  - 1
  - 2
...

	.end_amdgpu_metadata
